;; amdgpu-corpus repo=ROCm/rocFFT kind=compiled arch=gfx906 opt=O3
	.text
	.amdgcn_target "amdgcn-amd-amdhsa--gfx906"
	.amdhsa_code_object_version 6
	.protected	fft_rtc_back_len1331_factors_11_11_11_wgs_242_tpt_121_halfLds_dp_op_CI_CI_unitstride_sbrr_dirReg ; -- Begin function fft_rtc_back_len1331_factors_11_11_11_wgs_242_tpt_121_halfLds_dp_op_CI_CI_unitstride_sbrr_dirReg
	.globl	fft_rtc_back_len1331_factors_11_11_11_wgs_242_tpt_121_halfLds_dp_op_CI_CI_unitstride_sbrr_dirReg
	.p2align	8
	.type	fft_rtc_back_len1331_factors_11_11_11_wgs_242_tpt_121_halfLds_dp_op_CI_CI_unitstride_sbrr_dirReg,@function
fft_rtc_back_len1331_factors_11_11_11_wgs_242_tpt_121_halfLds_dp_op_CI_CI_unitstride_sbrr_dirReg: ; @fft_rtc_back_len1331_factors_11_11_11_wgs_242_tpt_121_halfLds_dp_op_CI_CI_unitstride_sbrr_dirReg
; %bb.0:
	s_load_dwordx4 s[8:11], s[4:5], 0x58
	s_load_dwordx4 s[12:15], s[4:5], 0x0
	;; [unrolled: 1-line block ×3, first 2 shown]
	v_mul_u32_u24_e32 v1, 0x21e, v0
	v_lshrrev_b32_e32 v53, 16, v1
	v_mov_b32_e32 v1, 0
	s_waitcnt lgkmcnt(0)
	v_cmp_lt_u64_e64 s[0:1], s[14:15], 2
	v_mov_b32_e32 v4, 0
	v_lshl_add_u32 v6, s6, 1, v53
	v_mov_b32_e32 v7, v1
	s_and_b64 vcc, exec, s[0:1]
	v_mov_b32_e32 v5, 0
	s_cbranch_vccnz .LBB0_8
; %bb.1:
	s_load_dwordx2 s[0:1], s[4:5], 0x10
	s_add_u32 s2, s18, 8
	s_addc_u32 s3, s19, 0
	s_add_u32 s6, s16, 8
	v_mov_b32_e32 v4, 0
	s_addc_u32 s7, s17, 0
	v_mov_b32_e32 v5, 0
	s_waitcnt lgkmcnt(0)
	s_add_u32 s20, s0, 8
	v_mov_b32_e32 v45, v5
	s_addc_u32 s21, s1, 0
	s_mov_b64 s[22:23], 1
	v_mov_b32_e32 v44, v4
.LBB0_2:                                ; =>This Inner Loop Header: Depth=1
	s_load_dwordx2 s[24:25], s[20:21], 0x0
                                        ; implicit-def: $vgpr46_vgpr47
	s_waitcnt lgkmcnt(0)
	v_or_b32_e32 v2, s25, v7
	v_cmp_ne_u64_e32 vcc, 0, v[1:2]
	s_and_saveexec_b64 s[0:1], vcc
	s_xor_b64 s[26:27], exec, s[0:1]
	s_cbranch_execz .LBB0_4
; %bb.3:                                ;   in Loop: Header=BB0_2 Depth=1
	v_cvt_f32_u32_e32 v2, s24
	v_cvt_f32_u32_e32 v3, s25
	s_sub_u32 s0, 0, s24
	s_subb_u32 s1, 0, s25
	v_mac_f32_e32 v2, 0x4f800000, v3
	v_rcp_f32_e32 v2, v2
	v_mul_f32_e32 v2, 0x5f7ffffc, v2
	v_mul_f32_e32 v3, 0x2f800000, v2
	v_trunc_f32_e32 v3, v3
	v_mac_f32_e32 v2, 0xcf800000, v3
	v_cvt_u32_f32_e32 v3, v3
	v_cvt_u32_f32_e32 v2, v2
	v_mul_lo_u32 v8, s0, v3
	v_mul_hi_u32 v9, s0, v2
	v_mul_lo_u32 v11, s1, v2
	v_mul_lo_u32 v10, s0, v2
	v_add_u32_e32 v8, v9, v8
	v_add_u32_e32 v8, v8, v11
	v_mul_hi_u32 v9, v2, v10
	v_mul_lo_u32 v11, v2, v8
	v_mul_hi_u32 v13, v2, v8
	v_mul_hi_u32 v12, v3, v10
	v_mul_lo_u32 v10, v3, v10
	v_mul_hi_u32 v14, v3, v8
	v_add_co_u32_e32 v9, vcc, v9, v11
	v_addc_co_u32_e32 v11, vcc, 0, v13, vcc
	v_mul_lo_u32 v8, v3, v8
	v_add_co_u32_e32 v9, vcc, v9, v10
	v_addc_co_u32_e32 v9, vcc, v11, v12, vcc
	v_addc_co_u32_e32 v10, vcc, 0, v14, vcc
	v_add_co_u32_e32 v8, vcc, v9, v8
	v_addc_co_u32_e32 v9, vcc, 0, v10, vcc
	v_add_co_u32_e32 v2, vcc, v2, v8
	v_addc_co_u32_e32 v3, vcc, v3, v9, vcc
	v_mul_lo_u32 v8, s0, v3
	v_mul_hi_u32 v9, s0, v2
	v_mul_lo_u32 v10, s1, v2
	v_mul_lo_u32 v11, s0, v2
	v_add_u32_e32 v8, v9, v8
	v_add_u32_e32 v8, v8, v10
	v_mul_lo_u32 v12, v2, v8
	v_mul_hi_u32 v13, v2, v11
	v_mul_hi_u32 v14, v2, v8
	;; [unrolled: 1-line block ×3, first 2 shown]
	v_mul_lo_u32 v11, v3, v11
	v_mul_hi_u32 v9, v3, v8
	v_add_co_u32_e32 v12, vcc, v13, v12
	v_addc_co_u32_e32 v13, vcc, 0, v14, vcc
	v_mul_lo_u32 v8, v3, v8
	v_add_co_u32_e32 v11, vcc, v12, v11
	v_addc_co_u32_e32 v10, vcc, v13, v10, vcc
	v_addc_co_u32_e32 v9, vcc, 0, v9, vcc
	v_add_co_u32_e32 v8, vcc, v10, v8
	v_addc_co_u32_e32 v9, vcc, 0, v9, vcc
	v_add_co_u32_e32 v8, vcc, v2, v8
	v_addc_co_u32_e32 v9, vcc, v3, v9, vcc
	v_mad_u64_u32 v[2:3], s[0:1], v6, v9, 0
	v_mul_hi_u32 v10, v6, v8
	v_add_co_u32_e32 v10, vcc, v10, v2
	v_addc_co_u32_e32 v11, vcc, 0, v3, vcc
	v_mad_u64_u32 v[2:3], s[0:1], v7, v8, 0
	v_mad_u64_u32 v[8:9], s[0:1], v7, v9, 0
	v_add_co_u32_e32 v2, vcc, v10, v2
	v_addc_co_u32_e32 v2, vcc, v11, v3, vcc
	v_addc_co_u32_e32 v3, vcc, 0, v9, vcc
	v_add_co_u32_e32 v8, vcc, v2, v8
	v_addc_co_u32_e32 v9, vcc, 0, v3, vcc
	v_mul_lo_u32 v10, s25, v8
	v_mul_lo_u32 v11, s24, v9
	v_mad_u64_u32 v[2:3], s[0:1], s24, v8, 0
	v_add3_u32 v3, v3, v11, v10
	v_sub_u32_e32 v10, v7, v3
	v_mov_b32_e32 v11, s25
	v_sub_co_u32_e32 v2, vcc, v6, v2
	v_subb_co_u32_e64 v10, s[0:1], v10, v11, vcc
	v_subrev_co_u32_e64 v11, s[0:1], s24, v2
	v_subbrev_co_u32_e64 v10, s[0:1], 0, v10, s[0:1]
	v_cmp_le_u32_e64 s[0:1], s25, v10
	v_cndmask_b32_e64 v12, 0, -1, s[0:1]
	v_cmp_le_u32_e64 s[0:1], s24, v11
	v_cndmask_b32_e64 v11, 0, -1, s[0:1]
	v_cmp_eq_u32_e64 s[0:1], s25, v10
	v_cndmask_b32_e64 v10, v12, v11, s[0:1]
	v_add_co_u32_e64 v11, s[0:1], 2, v8
	v_addc_co_u32_e64 v12, s[0:1], 0, v9, s[0:1]
	v_add_co_u32_e64 v13, s[0:1], 1, v8
	v_addc_co_u32_e64 v14, s[0:1], 0, v9, s[0:1]
	v_subb_co_u32_e32 v3, vcc, v7, v3, vcc
	v_cmp_ne_u32_e64 s[0:1], 0, v10
	v_cmp_le_u32_e32 vcc, s25, v3
	v_cndmask_b32_e64 v10, v14, v12, s[0:1]
	v_cndmask_b32_e64 v12, 0, -1, vcc
	v_cmp_le_u32_e32 vcc, s24, v2
	v_cndmask_b32_e64 v2, 0, -1, vcc
	v_cmp_eq_u32_e32 vcc, s25, v3
	v_cndmask_b32_e32 v2, v12, v2, vcc
	v_cmp_ne_u32_e32 vcc, 0, v2
	v_cndmask_b32_e64 v2, v13, v11, s[0:1]
	v_cndmask_b32_e32 v47, v9, v10, vcc
	v_cndmask_b32_e32 v46, v8, v2, vcc
.LBB0_4:                                ;   in Loop: Header=BB0_2 Depth=1
	s_andn2_saveexec_b64 s[0:1], s[26:27]
	s_cbranch_execz .LBB0_6
; %bb.5:                                ;   in Loop: Header=BB0_2 Depth=1
	v_cvt_f32_u32_e32 v2, s24
	s_sub_i32 s26, 0, s24
	v_mov_b32_e32 v47, v1
	v_rcp_iflag_f32_e32 v2, v2
	v_mul_f32_e32 v2, 0x4f7ffffe, v2
	v_cvt_u32_f32_e32 v2, v2
	v_mul_lo_u32 v3, s26, v2
	v_mul_hi_u32 v3, v2, v3
	v_add_u32_e32 v2, v2, v3
	v_mul_hi_u32 v2, v6, v2
	v_mul_lo_u32 v3, v2, s24
	v_add_u32_e32 v8, 1, v2
	v_sub_u32_e32 v3, v6, v3
	v_subrev_u32_e32 v9, s24, v3
	v_cmp_le_u32_e32 vcc, s24, v3
	v_cndmask_b32_e32 v3, v3, v9, vcc
	v_cndmask_b32_e32 v2, v2, v8, vcc
	v_add_u32_e32 v8, 1, v2
	v_cmp_le_u32_e32 vcc, s24, v3
	v_cndmask_b32_e32 v46, v2, v8, vcc
.LBB0_6:                                ;   in Loop: Header=BB0_2 Depth=1
	s_or_b64 exec, exec, s[0:1]
	v_mul_lo_u32 v8, v47, s24
	v_mul_lo_u32 v9, v46, s25
	v_mad_u64_u32 v[2:3], s[0:1], v46, s24, 0
	s_load_dwordx2 s[0:1], s[6:7], 0x0
	s_load_dwordx2 s[24:25], s[2:3], 0x0
	v_add3_u32 v3, v3, v9, v8
	v_sub_co_u32_e32 v2, vcc, v6, v2
	v_subb_co_u32_e32 v3, vcc, v7, v3, vcc
	s_waitcnt lgkmcnt(0)
	v_mul_lo_u32 v6, s0, v3
	v_mul_lo_u32 v7, s1, v2
	v_mad_u64_u32 v[4:5], s[0:1], s0, v2, v[4:5]
	v_mul_lo_u32 v3, s24, v3
	v_mul_lo_u32 v8, s25, v2
	v_mad_u64_u32 v[44:45], s[0:1], s24, v2, v[44:45]
	s_add_u32 s22, s22, 1
	s_addc_u32 s23, s23, 0
	s_add_u32 s2, s2, 8
	v_add3_u32 v45, v8, v45, v3
	s_addc_u32 s3, s3, 0
	v_mov_b32_e32 v2, s14
	s_add_u32 s6, s6, 8
	v_mov_b32_e32 v3, s15
	s_addc_u32 s7, s7, 0
	v_cmp_ge_u64_e32 vcc, s[22:23], v[2:3]
	s_add_u32 s20, s20, 8
	v_add3_u32 v5, v7, v5, v6
	s_addc_u32 s21, s21, 0
	s_cbranch_vccnz .LBB0_9
; %bb.7:                                ;   in Loop: Header=BB0_2 Depth=1
	v_mov_b32_e32 v6, v46
	v_mov_b32_e32 v7, v47
	s_branch .LBB0_2
.LBB0_8:
	v_mov_b32_e32 v45, v5
	v_mov_b32_e32 v47, v7
	;; [unrolled: 1-line block ×4, first 2 shown]
.LBB0_9:
	s_load_dwordx2 s[0:1], s[4:5], 0x28
	s_lshl_b64 s[4:5], s[14:15], 3
	s_add_u32 s34, s18, s4
	s_addc_u32 s35, s19, s5
                                        ; implicit-def: $sgpr6_sgpr7
                                        ; implicit-def: $vgpr50
	s_waitcnt lgkmcnt(0)
	v_cmp_gt_u64_e32 vcc, s[0:1], v[46:47]
	v_cmp_le_u64_e64 s[0:1], s[0:1], v[46:47]
	s_and_saveexec_b64 s[2:3], s[0:1]
	s_xor_b64 s[0:1], exec, s[2:3]
; %bb.10:
	s_mov_b32 s2, 0x21d9eae
	v_mul_hi_u32 v1, v0, s2
	s_mov_b64 s[6:7], 0
                                        ; implicit-def: $vgpr4_vgpr5
	v_mul_u32_u24_e32 v1, 0x79, v1
	v_sub_u32_e32 v50, v0, v1
                                        ; implicit-def: $vgpr0
; %bb.11:
	s_or_saveexec_b64 s[2:3], s[0:1]
	v_mov_b32_e32 v49, s7
	v_mov_b32_e32 v48, s6
                                        ; implicit-def: $vgpr22_vgpr23
                                        ; implicit-def: $vgpr18_vgpr19
                                        ; implicit-def: $vgpr26_vgpr27
                                        ; implicit-def: $vgpr30_vgpr31
                                        ; implicit-def: $vgpr34_vgpr35
                                        ; implicit-def: $vgpr38_vgpr39
                                        ; implicit-def: $vgpr42_vgpr43
                                        ; implicit-def: $vgpr14_vgpr15
                                        ; implicit-def: $vgpr10_vgpr11
                                        ; implicit-def: $vgpr6_vgpr7
                                        ; implicit-def: $vgpr2_vgpr3
	s_xor_b64 exec, exec, s[2:3]
	s_cbranch_execz .LBB0_13
; %bb.12:
	s_add_u32 s0, s16, s4
	s_addc_u32 s1, s17, s5
	s_load_dwordx2 s[0:1], s[0:1], 0x0
	s_mov_b32 s4, 0x21d9eae
	v_mul_hi_u32 v3, v0, s4
	s_waitcnt lgkmcnt(0)
	v_mul_lo_u32 v6, s1, v46
	v_mul_lo_u32 v7, s0, v47
	v_mad_u64_u32 v[1:2], s[0:1], s0, v46, 0
	v_mul_u32_u24_e32 v3, 0x79, v3
	v_sub_u32_e32 v50, v0, v3
	v_add3_u32 v2, v2, v7, v6
	v_lshlrev_b64 v[0:1], 4, v[1:2]
	v_mov_b32_e32 v2, s9
	v_add_co_u32_e64 v3, s[0:1], s8, v0
	v_addc_co_u32_e64 v2, s[0:1], v2, v1, s[0:1]
	v_lshlrev_b64 v[0:1], 4, v[4:5]
	v_add_co_u32_e64 v0, s[0:1], v3, v0
	v_addc_co_u32_e64 v1, s[0:1], v2, v1, s[0:1]
	v_lshlrev_b32_e32 v2, 4, v50
	v_add_co_u32_e64 v16, s[0:1], v0, v2
	v_addc_co_u32_e64 v17, s[0:1], 0, v1, s[0:1]
	s_movk_i32 s0, 0x1000
	v_add_co_u32_e64 v48, s[0:1], s0, v16
	v_addc_co_u32_e64 v49, s[0:1], 0, v17, s[0:1]
	s_movk_i32 s0, 0x2000
	;; [unrolled: 3-line block ×4, first 2 shown]
	v_add_co_u32_e64 v56, s[0:1], s0, v16
	global_load_dwordx4 v[0:3], v[16:17], off
	global_load_dwordx4 v[4:7], v[16:17], off offset:1936
	global_load_dwordx4 v[8:11], v[16:17], off offset:3872
	global_load_dwordx4 v[12:15], v[48:49], off offset:1712
	v_addc_co_u32_e64 v57, s[0:1], 0, v17, s[0:1]
	global_load_dwordx4 v[40:43], v[48:49], off offset:3648
	global_load_dwordx4 v[36:39], v[51:52], off offset:1488
	;; [unrolled: 1-line block ×7, first 2 shown]
	v_mov_b32_e32 v51, 0
	v_mov_b32_e32 v48, v50
	v_mov_b32_e32 v49, v51
.LBB0_13:
	s_or_b64 exec, exec, s[2:3]
	s_waitcnt vmcnt(9)
	v_add_f64 v[54:55], v[4:5], v[0:1]
	v_add_f64 v[56:57], v[6:7], v[2:3]
	s_waitcnt vmcnt(3)
	v_add_f64 v[66:67], v[28:29], v[40:41]
	v_add_f64 v[68:69], v[30:31], v[42:43]
	v_add_f64 v[70:71], v[40:41], -v[28:29]
	v_add_f64 v[72:73], v[42:43], -v[30:31]
	v_add_f64 v[60:61], v[32:33], v[36:37]
	v_add_f64 v[51:52], v[34:35], v[38:39]
	;; [unrolled: 1-line block ×4, first 2 shown]
	v_add_f64 v[62:63], v[36:37], -v[32:33]
	v_add_f64 v[64:65], v[38:39], -v[34:35]
	s_waitcnt vmcnt(0)
	v_add_f64 v[74:75], v[22:23], v[6:7]
	v_add_f64 v[6:7], v[6:7], -v[22:23]
	v_add_f64 v[76:77], v[24:25], v[12:13]
	v_add_f64 v[78:79], v[26:27], v[14:15]
	;; [unrolled: 1-line block ×4, first 2 shown]
	v_add_f64 v[12:13], v[12:13], -v[24:25]
	v_add_f64 v[14:15], v[14:15], -v[26:27]
	s_mov_b32 s18, 0xbb3a28a1
	s_mov_b32 s19, 0xbfe82f19
	v_add_f64 v[58:59], v[20:21], v[4:5]
	v_add_f64 v[4:5], v[4:5], -v[20:21]
	v_add_f64 v[40:41], v[40:41], v[54:55]
	v_add_f64 v[42:43], v[42:43], v[56:57]
	;; [unrolled: 1-line block ×4, first 2 shown]
	v_add_f64 v[8:9], v[8:9], -v[16:17]
	v_add_f64 v[10:11], v[10:11], -v[18:19]
	s_mov_b32 s22, 0xf8bb580b
	s_mov_b32 s20, 0x8eee2c13
	v_add_f64 v[36:37], v[36:37], v[40:41]
	v_add_f64 v[38:39], v[38:39], v[42:43]
	s_mov_b32 s16, 0x43842ef
	s_mov_b32 s4, 0x7f775887
	;; [unrolled: 1-line block ×6, first 2 shown]
	v_add_f64 v[32:33], v[32:33], v[36:37]
	v_add_f64 v[34:35], v[34:35], v[38:39]
	s_mov_b32 s5, 0xbfe4f49e
	s_mov_b32 s25, 0xbfd207e7
	v_mul_f64 v[36:37], v[4:5], s[22:23]
	s_mov_b32 s14, 0x8764f0ba
	s_mov_b32 s8, 0xd9c712b6
	;; [unrolled: 1-line block ×3, first 2 shown]
	v_add_f64 v[28:29], v[28:29], v[32:33]
	v_add_f64 v[30:31], v[30:31], v[34:35]
	v_mul_f64 v[34:35], v[6:7], s[18:19]
	v_mul_f64 v[32:33], v[6:7], s[22:23]
	s_mov_b32 s2, 0x9bcd5057
	s_mov_b32 s15, 0x3feaeb8c
	;; [unrolled: 1-line block ×4, first 2 shown]
	v_add_f64 v[24:25], v[24:25], v[28:29]
	v_add_f64 v[26:27], v[26:27], v[30:31]
	v_mul_f64 v[28:29], v[6:7], s[20:21]
	v_mul_f64 v[30:31], v[6:7], s[16:17]
	;; [unrolled: 1-line block ×3, first 2 shown]
	v_fma_f64 v[40:41], v[58:59], s[4:5], v[34:35]
	s_mov_b32 s3, 0xbfeeb42a
	v_fma_f64 v[38:39], v[58:59], s[14:15], v[32:33]
	v_add_f64 v[16:17], v[16:17], v[24:25]
	v_add_f64 v[18:19], v[18:19], v[26:27]
	v_fma_f64 v[24:25], v[58:59], s[14:15], -v[32:33]
	v_fma_f64 v[26:27], v[58:59], s[8:9], v[28:29]
	v_fma_f64 v[28:29], v[58:59], s[8:9], -v[28:29]
	v_fma_f64 v[32:33], v[58:59], s[6:7], v[30:31]
	;; [unrolled: 2-line block ×3, first 2 shown]
	v_add_f64 v[16:17], v[20:21], v[16:17]
	v_add_f64 v[21:22], v[22:23], v[18:19]
	v_fma_f64 v[18:19], v[58:59], s[4:5], -v[34:35]
	v_mul_f64 v[34:35], v[4:5], s[20:21]
	v_mul_f64 v[80:81], v[4:5], s[16:17]
	v_fma_f64 v[6:7], v[58:59], s[2:3], -v[6:7]
	v_mul_f64 v[58:59], v[4:5], s[18:19]
	v_mul_f64 v[4:5], v[4:5], s[24:25]
	v_fma_f64 v[82:83], v[74:75], s[14:15], -v[36:37]
	v_fma_f64 v[36:37], v[74:75], s[14:15], v[36:37]
	v_add_f64 v[38:39], v[0:1], v[38:39]
	v_fma_f64 v[84:85], v[74:75], s[8:9], -v[34:35]
	v_fma_f64 v[34:35], v[74:75], s[8:9], v[34:35]
	v_fma_f64 v[86:87], v[74:75], s[6:7], -v[80:81]
	v_fma_f64 v[80:81], v[74:75], s[6:7], v[80:81]
	;; [unrolled: 2-line block ×4, first 2 shown]
	v_add_f64 v[74:75], v[2:3], v[82:83]
	v_add_f64 v[82:83], v[2:3], v[84:85]
	v_mul_f64 v[84:85], v[10:11], s[20:21]
	v_mul_f64 v[92:93], v[8:9], s[20:21]
	v_add_f64 v[23:24], v[0:1], v[24:25]
	v_add_f64 v[36:37], v[2:3], v[36:37]
	;; [unrolled: 1-line block ×6, first 2 shown]
	v_fma_f64 v[94:95], v[54:55], s[8:9], v[84:85]
	v_add_f64 v[86:87], v[2:3], v[86:87]
	v_add_f64 v[29:30], v[0:1], v[30:31]
	v_add_f64 v[80:81], v[2:3], v[80:81]
	v_add_f64 v[40:41], v[0:1], v[40:41]
	v_add_f64 v[88:89], v[2:3], v[88:89]
	v_add_f64 v[18:19], v[0:1], v[18:19]
	v_add_f64 v[58:59], v[2:3], v[58:59]
	v_add_f64 v[42:43], v[0:1], v[42:43]
	v_add_f64 v[90:91], v[2:3], v[90:91]
	v_add_f64 v[0:1], v[0:1], v[6:7]
	v_fma_f64 v[6:7], v[56:57], s[8:9], -v[92:93]
	v_add_f64 v[2:3], v[2:3], v[4:5]
	v_add_f64 v[4:5], v[94:95], v[38:39]
	v_mul_f64 v[38:39], v[10:11], s[18:19]
	s_mov_b32 s29, 0x3fd207e7
	s_mov_b32 s28, s24
	v_mul_f64 v[94:95], v[8:9], s[18:19]
	v_mul_f64 v[102:103], v[8:9], s[28:29]
	v_add_f64 v[6:7], v[6:7], v[74:75]
	v_fma_f64 v[74:75], v[54:55], s[8:9], -v[84:85]
	v_fma_f64 v[84:85], v[56:57], s[8:9], v[92:93]
	v_fma_f64 v[92:93], v[54:55], s[4:5], v[38:39]
	s_mov_b32 s31, 0x3fefac9e
	s_mov_b32 s30, s16
	v_mul_f64 v[96:97], v[10:11], s[28:29]
	v_fma_f64 v[98:99], v[56:57], s[4:5], -v[94:95]
	v_fma_f64 v[38:39], v[54:55], s[4:5], -v[38:39]
	v_fma_f64 v[94:95], v[56:57], s[4:5], v[94:95]
	v_add_f64 v[36:37], v[84:85], v[36:37]
	v_add_f64 v[25:26], v[92:93], v[25:26]
	v_fma_f64 v[84:85], v[56:57], s[2:3], v[102:103]
	v_mul_f64 v[92:93], v[10:11], s[30:31]
	s_mov_b32 s27, 0x3fe14ced
	s_mov_b32 s26, s22
	v_fma_f64 v[100:101], v[54:55], s[2:3], v[96:97]
	v_add_f64 v[23:24], v[74:75], v[23:24]
	v_add_f64 v[74:75], v[98:99], v[82:83]
	;; [unrolled: 1-line block ×4, first 2 shown]
	v_fma_f64 v[38:39], v[56:57], s[2:3], -v[102:103]
	v_fma_f64 v[82:83], v[54:55], s[2:3], -v[96:97]
	v_mul_f64 v[10:11], v[10:11], s[26:27]
	v_mul_f64 v[94:95], v[8:9], s[30:31]
	v_add_f64 v[80:81], v[84:85], v[80:81]
	v_mul_f64 v[8:9], v[8:9], s[26:27]
	v_fma_f64 v[84:85], v[54:55], s[6:7], -v[92:93]
	v_mul_f64 v[96:97], v[12:13], s[16:17]
	v_add_f64 v[38:39], v[38:39], v[86:87]
	v_add_f64 v[29:30], v[82:83], v[29:30]
	v_fma_f64 v[82:83], v[54:55], s[6:7], v[92:93]
	v_fma_f64 v[86:87], v[54:55], s[14:15], v[10:11]
	v_fma_f64 v[92:93], v[56:57], s[6:7], -v[94:95]
	v_fma_f64 v[10:11], v[54:55], s[14:15], -v[10:11]
	v_mul_f64 v[54:55], v[14:15], s[16:17]
	v_fma_f64 v[98:99], v[56:57], s[14:15], -v[8:9]
	v_fma_f64 v[8:9], v[56:57], s[14:15], v[8:9]
	v_add_f64 v[18:19], v[84:85], v[18:19]
	v_fma_f64 v[84:85], v[78:79], s[6:7], -v[96:97]
	s_mov_b32 s37, 0x3fed1bb4
	s_mov_b32 s36, s20
	v_fma_f64 v[94:95], v[56:57], s[6:7], v[94:95]
	v_add_f64 v[40:41], v[82:83], v[40:41]
	v_add_f64 v[56:57], v[92:93], v[88:89]
	v_fma_f64 v[82:83], v[76:77], s[6:7], v[54:55]
	v_mul_f64 v[88:89], v[14:15], s[28:29]
	v_add_f64 v[0:1], v[10:11], v[0:1]
	v_add_f64 v[2:3], v[8:9], v[2:3]
	v_mul_f64 v[8:9], v[12:13], s[28:29]
	v_add_f64 v[6:7], v[84:85], v[6:7]
	v_fma_f64 v[10:11], v[76:77], s[6:7], -v[54:55]
	v_fma_f64 v[54:55], v[78:79], s[6:7], v[96:97]
	v_mul_f64 v[84:85], v[14:15], s[36:37]
	v_add_f64 v[31:32], v[100:101], v[32:33]
	v_add_f64 v[42:43], v[86:87], v[42:43]
	;; [unrolled: 1-line block ×4, first 2 shown]
	v_fma_f64 v[82:83], v[76:77], s[2:3], v[88:89]
	v_fma_f64 v[90:91], v[78:79], s[2:3], -v[8:9]
	v_mul_f64 v[92:93], v[12:13], s[36:37]
	v_add_f64 v[10:11], v[10:11], v[23:24]
	v_add_f64 v[23:24], v[54:55], v[36:37]
	v_fma_f64 v[8:9], v[78:79], s[2:3], v[8:9]
	v_fma_f64 v[36:37], v[76:77], s[8:9], v[84:85]
	v_add_f64 v[58:59], v[94:95], v[58:59]
	v_add_f64 v[25:26], v[82:83], v[25:26]
	;; [unrolled: 1-line block ×3, first 2 shown]
	v_fma_f64 v[74:75], v[78:79], s[8:9], -v[92:93]
	v_fma_f64 v[82:83], v[76:77], s[8:9], -v[84:85]
	v_fma_f64 v[84:85], v[78:79], s[8:9], v[92:93]
	v_add_f64 v[8:9], v[8:9], v[34:35]
	v_mul_f64 v[33:34], v[14:15], s[22:23]
	v_add_f64 v[31:32], v[36:37], v[31:32]
	v_mul_f64 v[14:15], v[14:15], s[18:19]
	v_mul_f64 v[35:36], v[12:13], s[22:23]
	v_fma_f64 v[88:89], v[76:77], s[2:3], -v[88:89]
	v_add_f64 v[37:38], v[74:75], v[38:39]
	v_add_f64 v[29:30], v[82:83], v[29:30]
	;; [unrolled: 1-line block ×3, first 2 shown]
	v_mul_f64 v[12:13], v[12:13], s[18:19]
	v_fma_f64 v[80:81], v[76:77], s[14:15], v[33:34]
	v_fma_f64 v[33:34], v[76:77], s[14:15], -v[33:34]
	v_fma_f64 v[82:83], v[76:77], s[4:5], v[14:15]
	v_fma_f64 v[84:85], v[78:79], s[14:15], -v[35:36]
	v_fma_f64 v[14:15], v[76:77], s[4:5], -v[14:15]
	v_fma_f64 v[35:36], v[78:79], s[14:15], v[35:36]
	v_mul_f64 v[76:77], v[72:73], s[18:19]
	v_mul_f64 v[90:91], v[70:71], s[18:19]
	v_add_f64 v[27:28], v[88:89], v[27:28]
	v_fma_f64 v[88:89], v[78:79], s[4:5], -v[12:13]
	v_fma_f64 v[12:13], v[78:79], s[4:5], v[12:13]
	v_add_f64 v[39:40], v[80:81], v[40:41]
	v_add_f64 v[18:19], v[33:34], v[18:19]
	;; [unrolled: 1-line block ×3, first 2 shown]
	v_fma_f64 v[35:36], v[66:67], s[4:5], v[76:77]
	v_fma_f64 v[58:59], v[68:69], s[4:5], -v[90:91]
	v_mul_f64 v[80:81], v[72:73], s[30:31]
	v_add_f64 v[0:1], v[14:15], v[0:1]
	v_mul_f64 v[14:15], v[70:71], s[30:31]
	v_add_f64 v[56:57], v[84:85], v[56:57]
	v_add_f64 v[41:42], v[82:83], v[42:43]
	;; [unrolled: 1-line block ×4, first 2 shown]
	v_fma_f64 v[12:13], v[66:67], s[4:5], -v[76:77]
	v_add_f64 v[6:7], v[58:59], v[6:7]
	v_fma_f64 v[35:36], v[68:69], s[4:5], v[90:91]
	v_fma_f64 v[58:59], v[66:67], s[6:7], v[80:81]
	v_mul_f64 v[76:77], v[72:73], s[22:23]
	v_fma_f64 v[82:83], v[68:69], s[6:7], -v[14:15]
	v_mul_f64 v[84:85], v[70:71], s[22:23]
	v_fma_f64 v[80:81], v[66:67], s[6:7], -v[80:81]
	v_add_f64 v[10:11], v[12:13], v[10:11]
	v_fma_f64 v[12:13], v[68:69], s[6:7], v[14:15]
	v_add_f64 v[14:15], v[35:36], v[23:24]
	v_add_f64 v[23:24], v[58:59], v[25:26]
	v_fma_f64 v[25:26], v[66:67], s[14:15], v[76:77]
	v_add_f64 v[35:36], v[82:83], v[54:55]
	v_fma_f64 v[54:55], v[68:69], s[14:15], -v[84:85]
	v_mul_f64 v[58:59], v[72:73], s[24:25]
	v_fma_f64 v[76:77], v[66:67], s[14:15], -v[76:77]
	v_add_f64 v[8:9], v[12:13], v[8:9]
	v_mul_f64 v[12:13], v[70:71], s[24:25]
	v_mul_f64 v[70:71], v[70:71], s[36:37]
	v_add_f64 v[25:26], v[25:26], v[31:32]
	v_fma_f64 v[31:32], v[68:69], s[14:15], v[84:85]
	v_add_f64 v[37:38], v[54:55], v[37:38]
	v_mul_f64 v[54:55], v[72:73], s[36:37]
	v_fma_f64 v[72:73], v[66:67], s[2:3], v[58:59]
	v_fma_f64 v[58:59], v[66:67], s[2:3], -v[58:59]
	v_add_f64 v[78:79], v[88:89], v[86:87]
	v_add_f64 v[27:28], v[80:81], v[27:28]
	v_fma_f64 v[80:81], v[68:69], s[2:3], -v[12:13]
	v_add_f64 v[29:30], v[76:77], v[29:30]
	v_add_f64 v[31:32], v[31:32], v[74:75]
	v_fma_f64 v[12:13], v[68:69], s[2:3], v[12:13]
	v_fma_f64 v[74:75], v[66:67], s[8:9], v[54:55]
	v_add_f64 v[39:40], v[72:73], v[39:40]
	v_fma_f64 v[72:73], v[68:69], s[8:9], -v[70:71]
	v_mul_f64 v[76:77], v[64:65], s[24:25]
	v_add_f64 v[18:19], v[58:59], v[18:19]
	v_mul_f64 v[58:59], v[62:63], s[24:25]
	v_add_f64 v[56:57], v[80:81], v[56:57]
	v_add_f64 v[12:13], v[12:13], v[33:34]
	;; [unrolled: 1-line block ×3, first 2 shown]
	v_fma_f64 v[41:42], v[66:67], s[8:9], -v[54:55]
	v_add_f64 v[54:55], v[72:73], v[78:79]
	v_fma_f64 v[66:67], v[68:69], s[8:9], v[70:71]
	v_fma_f64 v[68:69], v[60:61], s[2:3], v[76:77]
	v_mul_f64 v[70:71], v[64:65], s[26:27]
	v_fma_f64 v[72:73], v[51:52], s[2:3], -v[58:59]
	v_mul_f64 v[74:75], v[62:63], s[26:27]
	v_fma_f64 v[58:59], v[51:52], s[2:3], v[58:59]
	v_add_f64 v[0:1], v[41:42], v[0:1]
	v_fma_f64 v[76:77], v[60:61], s[2:3], -v[76:77]
	v_add_f64 v[41:42], v[66:67], v[2:3]
	v_add_f64 v[3:4], v[68:69], v[4:5]
	v_fma_f64 v[66:67], v[60:61], s[14:15], v[70:71]
	v_add_f64 v[68:69], v[72:73], v[6:7]
	v_fma_f64 v[5:6], v[51:52], s[14:15], -v[74:75]
	v_add_f64 v[58:59], v[58:59], v[14:15]
	v_mul_f64 v[14:15], v[64:65], s[18:19]
	v_fma_f64 v[70:71], v[60:61], s[14:15], -v[70:71]
	v_mul_f64 v[72:73], v[62:63], s[18:19]
	v_add_f64 v[10:11], v[76:77], v[10:11]
	v_add_f64 v[23:24], v[66:67], v[23:24]
	v_fma_f64 v[66:67], v[51:52], s[14:15], v[74:75]
	v_add_f64 v[35:36], v[5:6], v[35:36]
	v_mul_f64 v[5:6], v[64:65], s[36:37]
	v_mul_f64 v[74:75], v[62:63], s[36:37]
	v_fma_f64 v[76:77], v[60:61], s[4:5], v[14:15]
	v_add_f64 v[27:28], v[70:71], v[27:28]
	v_fma_f64 v[70:71], v[51:52], s[4:5], -v[72:73]
	v_fma_f64 v[14:15], v[60:61], s[4:5], -v[14:15]
	v_add_f64 v[66:67], v[66:67], v[8:9]
	v_fma_f64 v[7:8], v[51:52], s[4:5], v[72:73]
	v_fma_f64 v[72:73], v[60:61], s[8:9], v[5:6]
	v_fma_f64 v[78:79], v[51:52], s[8:9], -v[74:75]
	v_mul_f64 v[64:65], v[64:65], s[16:17]
	v_fma_f64 v[5:6], v[60:61], s[8:9], -v[5:6]
	v_add_f64 v[25:26], v[76:77], v[25:26]
	v_add_f64 v[14:15], v[14:15], v[29:30]
	v_mul_f64 v[29:30], v[62:63], s[16:17]
	v_add_f64 v[62:63], v[7:8], v[31:32]
	v_add_f64 v[7:8], v[72:73], v[39:40]
	;; [unrolled: 1-line block ×3, first 2 shown]
	v_fma_f64 v[31:32], v[60:61], s[6:7], v[64:65]
	v_fma_f64 v[56:57], v[60:61], s[6:7], -v[64:65]
	v_fma_f64 v[60:61], v[51:52], s[8:9], v[74:75]
	v_and_b32_e32 v2, 1, v53
	v_fma_f64 v[64:65], v[51:52], s[6:7], -v[29:30]
	v_fma_f64 v[29:30], v[51:52], s[6:7], v[29:30]
	v_add_f64 v[5:6], v[5:6], v[18:19]
	v_mov_b32_e32 v9, 0x2998
	v_cmp_eq_u32_e64 s[0:1], 1, v2
	v_add_f64 v[0:1], v[56:57], v[0:1]
	v_add_f64 v[51:52], v[60:61], v[12:13]
	;; [unrolled: 1-line block ×3, first 2 shown]
	v_cndmask_b32_e64 v2, 0, v9, s[0:1]
	v_add_u32_e32 v9, 0, v2
	s_movk_i32 s0, 0x58
	v_mad_u32_u24 v34, v50, s0, v9
	s_movk_i32 s0, 0xffb0
	s_load_dwordx2 s[34:35], s[34:35], 0x0
	ds_write2_b64 v34, v[16:17], v[3:4] offset1:1
	ds_write2_b64 v34, v[23:24], v[25:26] offset0:2 offset1:3
	ds_write2_b64 v34, v[7:8], v[12:13] offset0:4 offset1:5
	ds_write2_b64 v34, v[0:1], v[5:6] offset0:6 offset1:7
	ds_write2_b64 v34, v[14:15], v[27:28] offset0:8 offset1:9
	ds_write_b64 v34, v[10:11] offset:80
	v_mad_i32_i24 v25, v50, s0, v34
	s_movk_i32 s0, 0x75
	v_mul_lo_u16_sdwa v0, v50, s0 dst_sel:DWORD dst_unused:UNUSED_PAD src0_sel:BYTE_0 src1_sel:DWORD
	v_sub_u16_sdwa v1, v50, v0 dst_sel:DWORD dst_unused:UNUSED_PAD src0_sel:DWORD src1_sel:BYTE_1
	v_lshrrev_b16_e32 v1, 1, v1
	v_add_f64 v[37:38], v[70:71], v[37:38]
	v_and_b32_e32 v1, 0x7f, v1
	v_add_f64 v[53:54], v[64:65], v[54:55]
	v_add_u16_sdwa v0, v1, v0 dst_sel:DWORD dst_unused:UNUSED_PAD src0_sel:DWORD src1_sel:BYTE_1
	v_add_f64 v[41:42], v[29:30], v[41:42]
	v_lshrrev_b16_e32 v3, 3, v0
	v_mul_lo_u16_e32 v0, 11, v3
	v_sub_u16_e32 v4, v50, v0
	v_mov_b32_e32 v0, 10
	v_mul_u32_u24_sdwa v0, v4, v0 dst_sel:DWORD dst_unused:UNUSED_PAD src0_sel:BYTE_0 src1_sel:DWORD
	v_lshl_add_u32 v24, v50, 3, v9
	v_add_u32_e32 v26, 0x800, v25
	v_add_u32_e32 v27, 0x1000, v25
	;; [unrolled: 1-line block ×4, first 2 shown]
	v_lshlrev_b32_e32 v0, 4, v0
	s_waitcnt lgkmcnt(0)
	s_barrier
	ds_read_b64 v[87:88], v24
	ds_read2_b64 v[5:8], v25 offset0:121 offset1:242
	ds_read2_b64 v[9:12], v26 offset0:107 offset1:228
	;; [unrolled: 1-line block ×5, first 2 shown]
	s_waitcnt lgkmcnt(0)
	s_barrier
	ds_write2_b64 v34, v[21:22], v[68:69] offset1:1
	ds_write2_b64 v34, v[35:36], v[37:38] offset0:2 offset1:3
	ds_write2_b64 v34, v[39:40], v[53:54] offset0:4 offset1:5
	;; [unrolled: 1-line block ×4, first 2 shown]
	ds_write_b64 v34, v[58:59] offset:80
	s_waitcnt lgkmcnt(0)
	s_barrier
	global_load_dwordx4 v[34:37], v0, s[12:13]
	global_load_dwordx4 v[38:41], v0, s[12:13] offset:16
	global_load_dwordx4 v[51:54], v0, s[12:13] offset:32
	;; [unrolled: 1-line block ×9, first 2 shown]
	ds_read2_b64 v[83:86], v25 offset0:121 offset1:242
	s_mov_b32 s1, 0x3fe82f19
	s_mov_b32 s0, s18
	s_movk_i32 s33, 0x3c8
	v_mad_u32_u24 v3, v3, s33, 0
	s_waitcnt vmcnt(9)
	v_mul_f64 v[0:1], v[5:6], v[36:37]
	s_waitcnt lgkmcnt(0)
	v_mul_f64 v[21:22], v[83:84], v[36:37]
	s_waitcnt vmcnt(8)
	v_mul_f64 v[36:37], v[7:8], v[40:41]
	s_waitcnt vmcnt(6)
	v_mul_f64 v[91:92], v[11:12], v[57:58]
	v_fma_f64 v[0:1], v[83:84], v[34:35], -v[0:1]
	v_fma_f64 v[42:43], v[5:6], v[34:35], v[21:22]
	v_mul_f64 v[5:6], v[85:86], v[40:41]
	ds_read_b64 v[83:84], v24
	v_fma_f64 v[40:41], v[85:86], v[38:39], -v[36:37]
	ds_read2_b64 v[34:37], v26 offset0:107 offset1:228
	v_mul_f64 v[21:22], v[9:10], v[53:54]
	s_waitcnt lgkmcnt(1)
	v_add_f64 v[85:86], v[83:84], v[0:1]
	v_add_f64 v[89:90], v[87:88], v[42:43]
	s_waitcnt lgkmcnt(0)
	v_mul_f64 v[53:54], v[34:35], v[53:54]
	v_fma_f64 v[38:39], v[7:8], v[38:39], v[5:6]
	v_mul_f64 v[57:58], v[36:37], v[57:58]
	ds_read2_b64 v[5:8], v27 offset0:93 offset1:214
	v_fma_f64 v[34:35], v[34:35], v[51:52], -v[21:22]
	v_fma_f64 v[36:37], v[36:37], v[55:56], -v[91:92]
	v_add_f64 v[21:22], v[85:86], v[40:41]
	s_waitcnt vmcnt(4)
	v_mul_f64 v[85:86], v[15:16], v[65:66]
	v_fma_f64 v[51:52], v[9:10], v[51:52], v[53:54]
	v_add_f64 v[9:10], v[89:90], v[38:39]
	v_mul_f64 v[53:54], v[13:14], v[61:62]
	s_waitcnt lgkmcnt(0)
	v_mul_f64 v[61:62], v[5:6], v[61:62]
	v_fma_f64 v[55:56], v[11:12], v[55:56], v[57:58]
	v_add_f64 v[21:22], v[21:22], v[34:35]
	v_add_f64 v[57:58], v[9:10], v[51:52]
	v_fma_f64 v[53:54], v[5:6], v[59:60], -v[53:54]
	v_fma_f64 v[13:14], v[13:14], v[59:60], v[61:62]
	ds_read2_b64 v[9:12], v28 offset0:79 offset1:200
	v_fma_f64 v[59:60], v[7:8], v[63:64], -v[85:86]
	v_add_f64 v[5:6], v[21:22], v[36:37]
	v_mul_f64 v[21:22], v[7:8], v[65:66]
	s_waitcnt vmcnt(3)
	v_mul_f64 v[7:8], v[17:18], v[69:70]
	v_add_f64 v[57:58], v[57:58], v[55:56]
	s_waitcnt lgkmcnt(0)
	v_mul_f64 v[61:62], v[9:10], v[69:70]
	s_waitcnt vmcnt(0)
	v_mul_f64 v[65:66], v[32:33], v[81:82]
	v_add_f64 v[5:6], v[5:6], v[53:54]
	v_fma_f64 v[15:16], v[15:16], v[63:64], v[21:22]
	v_mul_f64 v[21:22], v[19:20], v[73:74]
	v_add_f64 v[57:58], v[57:58], v[13:14]
	v_fma_f64 v[9:10], v[9:10], v[67:68], -v[7:8]
	v_fma_f64 v[17:18], v[17:18], v[67:68], v[61:62]
	v_mul_f64 v[61:62], v[11:12], v[73:74]
	v_add_f64 v[63:64], v[5:6], v[59:60]
	ds_read2_b64 v[5:8], v29 offset0:65 offset1:186
	v_fma_f64 v[11:12], v[11:12], v[71:72], -v[21:22]
	v_add_f64 v[21:22], v[57:58], v[15:16]
	v_mul_f64 v[57:58], v[30:31], v[77:78]
	s_waitcnt lgkmcnt(0)
	v_fma_f64 v[19:20], v[19:20], v[71:72], v[61:62]
	v_mul_f64 v[61:62], v[5:6], v[77:78]
	v_add_f64 v[63:64], v[63:64], v[9:10]
	s_barrier
	v_add_f64 v[21:22], v[21:22], v[17:18]
	v_fma_f64 v[5:6], v[5:6], v[75:76], -v[57:58]
	v_fma_f64 v[30:31], v[30:31], v[75:76], v[61:62]
	v_add_f64 v[57:58], v[63:64], v[11:12]
	v_mul_f64 v[63:64], v[7:8], v[81:82]
	v_fma_f64 v[7:8], v[7:8], v[79:80], -v[65:66]
	v_add_f64 v[21:22], v[21:22], v[19:20]
	v_add_f64 v[95:96], v[40:41], -v[5:6]
	v_add_f64 v[57:58], v[57:58], v[5:6]
	v_fma_f64 v[32:33], v[32:33], v[79:80], v[63:64]
	v_add_f64 v[61:62], v[0:1], -v[7:8]
	v_add_f64 v[63:64], v[21:22], v[30:31]
	v_add_f64 v[5:6], v[40:41], v[5:6]
	v_mul_f64 v[101:102], v[95:96], s[18:19]
	v_add_f64 v[22:23], v[57:58], v[7:8]
	v_add_f64 v[57:58], v[42:43], v[32:33]
	v_mul_f64 v[65:66], v[61:62], s[22:23]
	v_add_f64 v[7:8], v[0:1], v[7:8]
	v_mul_f64 v[67:68], v[61:62], s[20:21]
	;; [unrolled: 2-line block ×3, first 2 shown]
	v_add_f64 v[32:33], v[42:43], -v[32:33]
	v_mul_f64 v[42:43], v[61:62], s[18:19]
	v_mul_f64 v[61:62], v[61:62], s[24:25]
	v_fma_f64 v[69:70], v[57:58], s[14:15], v[65:66]
	v_fma_f64 v[65:66], v[57:58], s[14:15], -v[65:66]
	v_fma_f64 v[71:72], v[57:58], s[8:9], v[67:68]
	v_fma_f64 v[67:68], v[57:58], s[8:9], -v[67:68]
	;; [unrolled: 2-line block ×5, first 2 shown]
	v_add_f64 v[61:62], v[87:88], v[69:70]
	v_add_f64 v[69:70], v[87:88], v[71:72]
	v_add_f64 v[71:72], v[87:88], v[73:74]
	v_mul_f64 v[73:74], v[7:8], s[14:15]
	v_add_f64 v[65:66], v[87:88], v[65:66]
	v_add_f64 v[67:68], v[87:88], v[67:68]
	;; [unrolled: 1-line block ×5, first 2 shown]
	v_mul_f64 v[79:80], v[7:8], s[8:9]
	v_add_f64 v[77:78], v[87:88], v[77:78]
	v_mul_f64 v[81:82], v[7:8], s[6:7]
	v_add_f64 v[57:58], v[87:88], v[57:58]
	v_fma_f64 v[85:86], v[32:33], s[26:27], v[73:74]
	v_fma_f64 v[73:74], v[32:33], s[22:23], v[73:74]
	v_mul_f64 v[87:88], v[7:8], s[4:5]
	v_mul_f64 v[7:8], v[7:8], s[2:3]
	v_fma_f64 v[89:90], v[32:33], s[36:37], v[79:80]
	v_fma_f64 v[79:80], v[32:33], s[20:21], v[79:80]
	;; [unrolled: 1-line block ×4, first 2 shown]
	v_mul_f64 v[105:106], v[5:6], s[4:5]
	v_add_f64 v[40:41], v[83:84], v[73:74]
	v_fma_f64 v[93:94], v[32:33], s[0:1], v[87:88]
	v_fma_f64 v[87:88], v[32:33], s[18:19], v[87:88]
	;; [unrolled: 1-line block ×4, first 2 shown]
	v_add_f64 v[32:33], v[83:84], v[85:86]
	v_add_f64 v[73:74], v[38:39], v[30:31]
	v_mul_f64 v[85:86], v[95:96], s[20:21]
	v_add_f64 v[30:31], v[38:39], -v[30:31]
	v_mul_f64 v[38:39], v[5:6], s[8:9]
	v_add_f64 v[89:90], v[83:84], v[89:90]
	v_add_f64 v[79:80], v[83:84], v[79:80]
	;; [unrolled: 1-line block ×5, first 2 shown]
	v_fma_f64 v[99:100], v[73:74], s[8:9], v[85:86]
	v_add_f64 v[87:88], v[83:84], v[87:88]
	v_fma_f64 v[103:104], v[30:31], s[36:37], v[38:39]
	v_add_f64 v[97:98], v[83:84], v[97:98]
	v_add_f64 v[7:8], v[83:84], v[7:8]
	v_fma_f64 v[83:84], v[73:74], s[8:9], -v[85:86]
	v_fma_f64 v[38:39], v[30:31], s[20:21], v[38:39]
	v_fma_f64 v[85:86], v[73:74], s[4:5], v[101:102]
	v_add_f64 v[61:62], v[99:100], v[61:62]
	v_mul_f64 v[99:100], v[95:96], s[28:29]
	v_mul_f64 v[107:108], v[5:6], s[2:3]
	v_add_f64 v[32:33], v[103:104], v[32:33]
	v_fma_f64 v[103:104], v[30:31], s[0:1], v[105:106]
	v_add_f64 v[65:66], v[83:84], v[65:66]
	v_fma_f64 v[83:84], v[73:74], s[4:5], -v[101:102]
	v_add_f64 v[38:39], v[38:39], v[40:41]
	v_add_f64 v[40:41], v[85:86], v[69:70]
	v_fma_f64 v[69:70], v[30:31], s[18:19], v[105:106]
	v_fma_f64 v[85:86], v[73:74], s[2:3], v[99:100]
	;; [unrolled: 1-line block ×3, first 2 shown]
	v_add_f64 v[89:90], v[103:104], v[89:90]
	v_fma_f64 v[99:100], v[73:74], s[2:3], -v[99:100]
	v_add_f64 v[67:68], v[83:84], v[67:68]
	v_fma_f64 v[83:84], v[30:31], s[28:29], v[107:108]
	v_mul_f64 v[103:104], v[95:96], s[30:31]
	v_add_f64 v[69:70], v[69:70], v[79:80]
	v_add_f64 v[71:72], v[85:86], v[71:72]
	v_mul_f64 v[79:80], v[95:96], s[26:27]
	v_add_f64 v[85:86], v[101:102], v[91:92]
	v_mul_f64 v[91:92], v[5:6], s[6:7]
	v_mul_f64 v[5:6], v[5:6], s[14:15]
	v_add_f64 v[101:102], v[34:35], -v[11:12]
	v_add_f64 v[11:12], v[34:35], v[11:12]
	v_add_f64 v[63:64], v[99:100], v[63:64]
	;; [unrolled: 1-line block ×3, first 2 shown]
	v_fma_f64 v[83:84], v[73:74], s[6:7], v[103:104]
	v_fma_f64 v[95:96], v[73:74], s[6:7], -v[103:104]
	v_fma_f64 v[99:100], v[73:74], s[14:15], v[79:80]
	v_fma_f64 v[73:74], v[73:74], s[14:15], -v[79:80]
	v_fma_f64 v[79:80], v[30:31], s[16:17], v[91:92]
	v_fma_f64 v[34:35], v[30:31], s[30:31], v[91:92]
	v_fma_f64 v[91:92], v[30:31], s[22:23], v[5:6]
	v_fma_f64 v[5:6], v[30:31], s[26:27], v[5:6]
	v_add_f64 v[30:31], v[51:52], v[19:20]
	v_add_f64 v[19:20], v[51:52], -v[19:20]
	v_mul_f64 v[51:52], v[11:12], s[6:7]
	v_mul_f64 v[103:104], v[101:102], s[16:17]
	v_add_f64 v[79:80], v[79:80], v[93:94]
	v_add_f64 v[75:76], v[83:84], v[75:76]
	;; [unrolled: 1-line block ×4, first 2 shown]
	v_mul_f64 v[91:92], v[101:102], s[28:29]
	v_add_f64 v[57:58], v[73:74], v[57:58]
	v_fma_f64 v[93:94], v[19:20], s[30:31], v[51:52]
	v_fma_f64 v[83:84], v[30:31], s[6:7], v[103:104]
	v_mul_f64 v[73:74], v[11:12], s[2:3]
	v_add_f64 v[5:6], v[5:6], v[7:8]
	v_fma_f64 v[7:8], v[30:31], s[6:7], -v[103:104]
	v_fma_f64 v[51:52], v[19:20], s[16:17], v[51:52]
	v_add_f64 v[42:43], v[95:96], v[42:43]
	v_mul_f64 v[97:98], v[11:12], s[8:9]
	v_add_f64 v[32:33], v[93:94], v[32:33]
	v_mul_f64 v[93:94], v[101:102], s[36:37]
	v_add_f64 v[61:62], v[83:84], v[61:62]
	v_fma_f64 v[83:84], v[30:31], s[2:3], v[91:92]
	v_fma_f64 v[95:96], v[19:20], s[24:25], v[73:74]
	v_add_f64 v[7:8], v[7:8], v[65:66]
	v_fma_f64 v[65:66], v[30:31], s[2:3], -v[91:92]
	v_add_f64 v[38:39], v[51:52], v[38:39]
	v_fma_f64 v[51:52], v[19:20], s[28:29], v[73:74]
	v_fma_f64 v[73:74], v[30:31], s[8:9], v[93:94]
	v_fma_f64 v[91:92], v[30:31], s[8:9], -v[93:94]
	v_add_f64 v[40:41], v[83:84], v[40:41]
	v_add_f64 v[83:84], v[95:96], v[89:90]
	v_fma_f64 v[89:90], v[19:20], s[20:21], v[97:98]
	v_add_f64 v[65:66], v[65:66], v[67:68]
	v_fma_f64 v[67:68], v[19:20], s[36:37], v[97:98]
	v_mul_f64 v[93:94], v[101:102], s[22:23]
	v_add_f64 v[51:52], v[51:52], v[69:70]
	v_add_f64 v[69:70], v[73:74], v[71:72]
	v_mul_f64 v[71:72], v[101:102], s[18:19]
	v_add_f64 v[63:64], v[91:92], v[63:64]
	v_add_f64 v[73:74], v[89:90], v[85:86]
	v_mul_f64 v[85:86], v[11:12], s[14:15]
	v_add_f64 v[67:68], v[67:68], v[81:82]
	v_fma_f64 v[81:82], v[30:31], s[14:15], v[93:94]
	v_mul_f64 v[11:12], v[11:12], s[4:5]
	v_fma_f64 v[89:90], v[30:31], s[14:15], -v[93:94]
	v_fma_f64 v[91:92], v[30:31], s[4:5], v[71:72]
	v_fma_f64 v[30:31], v[30:31], s[4:5], -v[71:72]
	v_add_f64 v[71:72], v[36:37], -v[9:10]
	v_add_f64 v[9:10], v[36:37], v[9:10]
	v_add_f64 v[77:78], v[99:100], v[77:78]
	v_fma_f64 v[93:94], v[19:20], s[26:27], v[85:86]
	v_fma_f64 v[36:37], v[19:20], s[22:23], v[85:86]
	;; [unrolled: 1-line block ×4, first 2 shown]
	v_add_f64 v[19:20], v[81:82], v[75:76]
	v_add_f64 v[75:76], v[55:56], v[17:18]
	v_mul_f64 v[81:82], v[71:72], s[18:19]
	v_add_f64 v[17:18], v[55:56], -v[17:18]
	v_mul_f64 v[55:56], v[9:10], s[4:5]
	v_add_f64 v[34:35], v[36:37], v[34:35]
	v_add_f64 v[36:37], v[91:92], v[77:78]
	;; [unrolled: 1-line block ×3, first 2 shown]
	v_mul_f64 v[87:88], v[71:72], s[30:31]
	v_mul_f64 v[91:92], v[9:10], s[6:7]
	v_fma_f64 v[85:86], v[75:76], s[4:5], v[81:82]
	v_add_f64 v[42:43], v[89:90], v[42:43]
	v_fma_f64 v[89:90], v[17:18], s[0:1], v[55:56]
	v_add_f64 v[30:31], v[30:31], v[57:58]
	v_add_f64 v[5:6], v[11:12], v[5:6]
	v_fma_f64 v[11:12], v[75:76], s[4:5], -v[81:82]
	v_fma_f64 v[55:56], v[17:18], s[18:19], v[55:56]
	v_fma_f64 v[81:82], v[17:18], s[16:17], v[91:92]
	v_add_f64 v[57:58], v[85:86], v[61:62]
	v_fma_f64 v[61:62], v[75:76], s[6:7], v[87:88]
	v_mul_f64 v[85:86], v[71:72], s[22:23]
	v_add_f64 v[32:33], v[89:90], v[32:33]
	v_mul_f64 v[89:90], v[9:10], s[14:15]
	v_add_f64 v[7:8], v[11:12], v[7:8]
	v_add_f64 v[11:12], v[55:56], v[38:39]
	v_fma_f64 v[38:39], v[75:76], s[6:7], -v[87:88]
	v_fma_f64 v[55:56], v[17:18], s[30:31], v[91:92]
	v_add_f64 v[40:41], v[61:62], v[40:41]
	v_add_f64 v[61:62], v[81:82], v[83:84]
	v_fma_f64 v[81:82], v[75:76], s[14:15], v[85:86]
	v_fma_f64 v[85:86], v[75:76], s[14:15], -v[85:86]
	v_fma_f64 v[83:84], v[17:18], s[26:27], v[89:90]
	v_fma_f64 v[87:88], v[17:18], s[22:23], v[89:90]
	v_add_f64 v[38:39], v[38:39], v[65:66]
	v_mul_f64 v[65:66], v[71:72], s[24:25]
	v_add_f64 v[51:52], v[55:56], v[51:52]
	v_mul_f64 v[55:56], v[71:72], s[36:37]
	v_add_f64 v[69:70], v[81:82], v[69:70]
	v_add_f64 v[63:64], v[85:86], v[63:64]
	v_add_f64 v[85:86], v[53:54], -v[59:60]
	v_add_f64 v[53:54], v[53:54], v[59:60]
	v_add_f64 v[71:72], v[83:84], v[73:74]
	v_mul_f64 v[73:74], v[9:10], s[2:3]
	v_mul_f64 v[9:10], v[9:10], s[8:9]
	v_add_f64 v[67:68], v[87:88], v[67:68]
	v_fma_f64 v[81:82], v[75:76], s[2:3], v[65:66]
	v_fma_f64 v[65:66], v[75:76], s[2:3], -v[65:66]
	v_fma_f64 v[83:84], v[75:76], s[8:9], v[55:56]
	v_fma_f64 v[55:56], v[75:76], s[8:9], -v[55:56]
	v_add_f64 v[75:76], v[13:14], v[15:16]
	v_add_f64 v[13:14], v[13:14], -v[15:16]
	v_mul_f64 v[87:88], v[53:54], s[2:3]
	v_add_f64 v[79:80], v[93:94], v[79:80]
	v_fma_f64 v[59:60], v[17:18], s[28:29], v[73:74]
	v_fma_f64 v[73:74], v[17:18], s[24:25], v[73:74]
	v_mul_f64 v[15:16], v[85:86], s[24:25]
	v_fma_f64 v[89:90], v[17:18], s[20:21], v[9:10]
	v_add_f64 v[42:43], v[65:66], v[42:43]
	v_fma_f64 v[9:10], v[17:18], s[36:37], v[9:10]
	v_fma_f64 v[65:66], v[13:14], s[28:29], v[87:88]
	v_add_f64 v[17:18], v[81:82], v[19:20]
	v_add_f64 v[19:20], v[59:60], v[79:80]
	;; [unrolled: 1-line block ×3, first 2 shown]
	v_fma_f64 v[59:60], v[75:76], s[2:3], v[15:16]
	v_add_f64 v[73:74], v[89:90], v[77:78]
	v_mul_f64 v[77:78], v[85:86], s[26:27]
	v_mul_f64 v[79:80], v[53:54], s[14:15]
	v_add_f64 v[32:33], v[65:66], v[32:33]
	v_fma_f64 v[15:16], v[75:76], s[2:3], -v[15:16]
	v_mul_f64 v[65:66], v[85:86], s[18:19]
	v_add_f64 v[30:31], v[55:56], v[30:31]
	v_add_f64 v[5:6], v[9:10], v[5:6]
	;; [unrolled: 1-line block ×3, first 2 shown]
	v_fma_f64 v[55:56], v[13:14], s[24:25], v[87:88]
	v_fma_f64 v[57:58], v[75:76], s[14:15], v[77:78]
	;; [unrolled: 1-line block ×3, first 2 shown]
	v_mul_f64 v[81:82], v[53:54], s[4:5]
	v_fma_f64 v[77:78], v[75:76], s[14:15], -v[77:78]
	v_add_f64 v[7:8], v[15:16], v[7:8]
	v_fma_f64 v[15:16], v[75:76], s[4:5], v[65:66]
	v_fma_f64 v[79:80], v[13:14], s[26:27], v[79:80]
	v_add_f64 v[55:56], v[55:56], v[11:12]
	v_add_f64 v[11:12], v[57:58], v[40:41]
	;; [unrolled: 1-line block ×3, first 2 shown]
	v_fma_f64 v[57:58], v[13:14], s[0:1], v[81:82]
	v_mul_f64 v[59:60], v[85:86], s[36:37]
	v_mul_f64 v[61:62], v[53:54], s[8:9]
	v_add_f64 v[38:39], v[77:78], v[38:39]
	v_fma_f64 v[65:66], v[75:76], s[4:5], -v[65:66]
	v_fma_f64 v[77:78], v[13:14], s[18:19], v[81:82]
	v_add_f64 v[15:16], v[15:16], v[69:70]
	v_mul_f64 v[69:70], v[85:86], s[16:17]
	v_add_f64 v[51:52], v[79:80], v[51:52]
	v_add_f64 v[57:58], v[57:58], v[71:72]
	v_fma_f64 v[71:72], v[75:76], s[8:9], v[59:60]
	v_fma_f64 v[79:80], v[13:14], s[20:21], v[61:62]
	v_mul_f64 v[53:54], v[53:54], s[6:7]
	v_add_f64 v[36:37], v[83:84], v[36:37]
	v_add_f64 v[63:64], v[65:66], v[63:64]
	;; [unrolled: 1-line block ×3, first 2 shown]
	v_fma_f64 v[67:68], v[75:76], s[6:7], v[69:70]
	v_fma_f64 v[59:60], v[75:76], s[8:9], -v[59:60]
	v_add_f64 v[17:18], v[71:72], v[17:18]
	v_add_f64 v[71:72], v[79:80], v[19:20]
	v_fma_f64 v[19:20], v[75:76], s[6:7], -v[69:70]
	v_fma_f64 v[61:62], v[13:14], s[36:37], v[61:62]
	v_fma_f64 v[77:78], v[13:14], s[30:31], v[53:54]
	v_fma_f64 v[13:14], v[13:14], s[16:17], v[53:54]
	v_add_f64 v[36:37], v[67:68], v[36:37]
	v_add_f64 v[42:43], v[59:60], v[42:43]
	s_movk_i32 s1, 0x1000
	s_movk_i32 s0, 0x2000
	v_add_f64 v[19:20], v[19:20], v[30:31]
	v_add_f64 v[34:35], v[61:62], v[34:35]
	;; [unrolled: 1-line block ×4, first 2 shown]
	v_mov_b32_e32 v5, 3
	v_lshlrev_b32_sdwa v4, v5, v4 dst_sel:DWORD dst_unused:UNUSED_PAD src0_sel:DWORD src1_sel:BYTE_0
	v_add3_u32 v59, v3, v4, v2
	ds_write2_b64 v59, v[0:1], v[9:10] offset1:11
	ds_write2_b64 v59, v[11:12], v[15:16] offset0:22 offset1:33
	ds_write2_b64 v59, v[17:18], v[36:37] offset0:44 offset1:55
	;; [unrolled: 1-line block ×4, first 2 shown]
	ds_write_b64 v59, v[7:8] offset:880
	s_waitcnt lgkmcnt(0)
	s_barrier
	ds_read_b64 v[20:21], v24
	ds_read2_b64 v[0:3], v25 offset0:121 offset1:242
	ds_read2_b64 v[8:11], v26 offset0:107 offset1:228
	;; [unrolled: 1-line block ×5, first 2 shown]
	s_waitcnt lgkmcnt(0)
	s_barrier
	ds_write2_b64 v59, v[22:23], v[32:33] offset1:11
	ds_write2_b64 v59, v[40:41], v[57:58] offset0:22 offset1:33
	ds_write2_b64 v59, v[71:72], v[53:54] offset0:44 offset1:55
	;; [unrolled: 1-line block ×4, first 2 shown]
	ds_write_b64 v59, v[55:56] offset:880
	s_waitcnt lgkmcnt(0)
	s_barrier
	s_and_saveexec_b64 s[38:39], vcc
	s_cbranch_execz .LBB0_15
; %bb.14:
	v_mul_u32_u24_e32 v22, 10, v50
	v_lshlrev_b32_e32 v22, 4, v22
	global_load_dwordx4 v[30:33], v22, s[12:13] offset:1824
	global_load_dwordx4 v[38:41], v22, s[12:13] offset:1840
	;; [unrolled: 1-line block ×10, first 2 shown]
	ds_read2_b64 v[82:85], v27 offset0:93 offset1:214
	ds_read2_b64 v[86:89], v26 offset0:107 offset1:228
	;; [unrolled: 1-line block ×5, first 2 shown]
	ds_read_b64 v[22:23], v24
	s_waitcnt vmcnt(9)
	v_mul_f64 v[24:25], v[16:17], v[30:31]
	v_mul_f64 v[16:17], v[16:17], v[32:33]
	s_waitcnt vmcnt(7)
	v_mul_f64 v[42:43], v[10:11], v[50:51]
	v_mul_f64 v[10:11], v[10:11], v[52:53]
	;; [unrolled: 3-line block ×3, first 2 shown]
	v_mul_f64 v[26:27], v[18:19], v[38:39]
	v_mul_f64 v[18:19], v[18:19], v[40:41]
	s_waitcnt vmcnt(1)
	v_mul_f64 v[112:113], v[0:1], v[74:75]
	s_waitcnt vmcnt(0)
	v_mul_f64 v[114:115], v[6:7], v[78:79]
	v_mul_f64 v[0:1], v[0:1], v[76:77]
	;; [unrolled: 1-line block ×11, first 2 shown]
	s_waitcnt lgkmcnt(5)
	v_fma_f64 v[34:35], v[82:83], v[32:33], v[24:25]
	v_fma_f64 v[36:37], v[82:83], v[30:31], -v[16:17]
	s_waitcnt lgkmcnt(4)
	v_fma_f64 v[42:43], v[88:89], v[52:53], v[42:43]
	v_fma_f64 v[50:51], v[88:89], v[50:51], -v[10:11]
	v_fma_f64 v[58:59], v[86:87], v[58:59], -v[8:9]
	s_waitcnt lgkmcnt(2)
	v_fma_f64 v[82:83], v[94:95], v[76:77], v[112:113]
	s_waitcnt lgkmcnt(1)
	v_fma_f64 v[8:9], v[100:101], v[80:81], v[114:115]
	v_fma_f64 v[88:89], v[94:95], v[74:75], -v[0:1]
	v_fma_f64 v[10:11], v[100:101], v[78:79], -v[6:7]
	v_fma_f64 v[28:29], v[84:85], v[40:41], v[26:27]
	v_fma_f64 v[32:33], v[84:85], v[38:39], -v[18:19]
	v_fma_f64 v[26:27], v[90:91], v[54:55], -v[12:13]
	v_fma_f64 v[54:55], v[86:87], v[60:61], v[104:105]
	v_fma_f64 v[16:17], v[92:93], v[64:65], v[106:107]
	v_fma_f64 v[18:19], v[92:93], v[62:63], -v[14:15]
	v_fma_f64 v[62:63], v[96:97], v[68:69], v[108:109]
	v_fma_f64 v[12:13], v[98:99], v[72:73], v[110:111]
	v_fma_f64 v[64:65], v[96:97], v[66:67], -v[2:3]
	v_fma_f64 v[14:15], v[98:99], v[70:71], -v[4:5]
	v_add_f64 v[94:95], v[82:83], -v[8:9]
	v_add_f64 v[86:87], v[88:89], -v[10:11]
	v_add_f64 v[74:75], v[88:89], v[10:11]
	v_add_f64 v[80:81], v[82:83], v[8:9]
	v_fma_f64 v[24:25], v[90:91], v[56:57], v[102:103]
	v_add_f64 v[96:97], v[62:63], -v[12:13]
	v_add_f64 v[92:93], v[54:55], -v[16:17]
	;; [unrolled: 1-line block ×3, first 2 shown]
	v_mul_f64 v[0:1], v[94:95], s[24:25]
	v_mul_f64 v[2:3], v[86:87], s[24:25]
	v_add_f64 v[66:67], v[64:65], v[14:15]
	v_add_f64 v[78:79], v[58:59], -v[18:19]
	v_add_f64 v[72:73], v[62:63], v[12:13]
	v_mul_f64 v[4:5], v[96:97], s[26:27]
	v_mul_f64 v[112:113], v[94:95], s[18:19]
	;; [unrolled: 1-line block ×3, first 2 shown]
	v_fma_f64 v[128:129], v[74:75], s[2:3], v[0:1]
	v_fma_f64 v[130:131], v[80:81], s[2:3], -v[2:3]
	v_fma_f64 v[0:1], v[74:75], s[2:3], -v[0:1]
	v_fma_f64 v[2:3], v[80:81], s[2:3], v[2:3]
	v_add_f64 v[70:71], v[42:43], -v[24:25]
	v_add_f64 v[40:41], v[58:59], v[18:19]
	v_add_f64 v[90:91], v[50:51], -v[26:27]
	v_add_f64 v[68:69], v[54:55], v[16:17]
	v_mul_f64 v[98:99], v[92:93], s[18:19]
	v_mul_f64 v[100:101], v[78:79], s[18:19]
	;; [unrolled: 1-line block ×4, first 2 shown]
	v_fma_f64 v[132:133], v[66:67], s[14:15], v[4:5]
	v_fma_f64 v[134:135], v[72:73], s[14:15], -v[6:7]
	v_fma_f64 v[4:5], v[66:67], s[14:15], -v[4:5]
	v_fma_f64 v[6:7], v[72:73], s[14:15], v[6:7]
	v_fma_f64 v[148:149], v[74:75], s[4:5], v[112:113]
	s_waitcnt lgkmcnt(0)
	v_add_f64 v[0:1], v[22:23], v[0:1]
	v_add_f64 v[2:3], v[20:21], v[2:3]
	v_add_f64 v[56:57], v[34:35], -v[28:29]
	v_add_f64 v[38:39], v[50:51], v[26:27]
	v_add_f64 v[76:77], v[36:37], -v[32:33]
	v_add_f64 v[60:61], v[42:43], v[24:25]
	v_mul_f64 v[104:105], v[70:71], s[36:37]
	v_mul_f64 v[108:109], v[90:91], s[36:37]
	;; [unrolled: 1-line block ×4, first 2 shown]
	v_fma_f64 v[136:137], v[40:41], s[4:5], v[98:99]
	v_fma_f64 v[138:139], v[68:69], s[4:5], -v[100:101]
	v_fma_f64 v[98:99], v[40:41], s[4:5], -v[98:99]
	v_fma_f64 v[100:101], v[68:69], s[4:5], v[100:101]
	v_fma_f64 v[150:151], v[80:81], s[4:5], -v[114:115]
	v_add_f64 v[128:129], v[22:23], v[128:129]
	v_add_f64 v[130:131], v[20:21], v[130:131]
	v_fma_f64 v[152:153], v[66:67], s[6:7], v[110:111]
	v_add_f64 v[148:149], v[22:23], v[148:149]
	v_add_f64 v[0:1], v[4:5], v[0:1]
	;; [unrolled: 1-line block ×5, first 2 shown]
	v_mul_f64 v[102:103], v[56:57], s[16:17]
	v_mul_f64 v[106:107], v[76:77], s[16:17]
	;; [unrolled: 1-line block ×4, first 2 shown]
	v_fma_f64 v[140:141], v[38:39], s[8:9], v[104:105]
	v_fma_f64 v[142:143], v[60:61], s[8:9], -v[108:109]
	v_fma_f64 v[104:105], v[38:39], s[8:9], -v[104:105]
	v_fma_f64 v[108:109], v[60:61], s[8:9], v[108:109]
	v_fma_f64 v[154:155], v[72:73], s[6:7], -v[116:117]
	v_fma_f64 v[156:157], v[40:41], s[14:15], v[118:119]
	v_add_f64 v[128:129], v[132:133], v[128:129]
	v_add_f64 v[130:131], v[134:135], v[130:131]
	;; [unrolled: 1-line block ×6, first 2 shown]
	v_mul_f64 v[126:127], v[56:57], s[36:37]
	v_fma_f64 v[144:145], v[30:31], s[6:7], v[102:103]
	v_fma_f64 v[146:147], v[52:53], s[6:7], -v[106:107]
	v_fma_f64 v[102:103], v[30:31], s[6:7], -v[102:103]
	v_fma_f64 v[106:107], v[52:53], s[6:7], v[106:107]
	v_fma_f64 v[4:5], v[68:69], s[14:15], -v[120:121]
	v_fma_f64 v[132:133], v[38:39], s[2:3], v[122:123]
	v_add_f64 v[128:129], v[136:137], v[128:129]
	v_add_f64 v[130:131], v[138:139], v[130:131]
	;; [unrolled: 1-line block ×3, first 2 shown]
	v_fma_f64 v[100:101], v[74:75], s[4:5], -v[112:113]
	v_add_f64 v[112:113], v[156:157], v[134:135]
	v_add_f64 v[104:105], v[104:105], v[0:1]
	;; [unrolled: 1-line block ×3, first 2 shown]
	v_fma_f64 v[114:115], v[80:81], s[4:5], v[114:115]
	v_mul_f64 v[124:125], v[90:91], s[24:25]
	v_add_f64 v[128:129], v[140:141], v[128:129]
	v_add_f64 v[130:131], v[142:143], v[130:131]
	v_fma_f64 v[110:111], v[66:67], s[6:7], -v[110:111]
	v_add_f64 v[134:135], v[4:5], v[6:7]
	v_add_f64 v[112:113], v[132:133], v[112:113]
	;; [unrolled: 1-line block ×5, first 2 shown]
	v_fma_f64 v[102:103], v[30:31], s[8:9], v[126:127]
	v_fma_f64 v[106:107], v[72:73], s[6:7], v[116:117]
	v_mul_f64 v[108:109], v[94:95], s[16:17]
	v_add_f64 v[114:115], v[20:21], v[114:115]
	v_mul_f64 v[116:117], v[86:87], s[16:17]
	v_fma_f64 v[98:99], v[60:61], s[2:3], -v[124:125]
	v_add_f64 v[2:3], v[144:145], v[128:129]
	v_add_f64 v[0:1], v[146:147], v[130:131]
	;; [unrolled: 1-line block ×3, first 2 shown]
	v_fma_f64 v[118:119], v[40:41], s[14:15], -v[118:119]
	v_add_f64 v[100:101], v[102:103], v[112:113]
	v_mul_f64 v[112:113], v[96:97], s[28:29]
	v_fma_f64 v[128:129], v[74:75], s[6:7], v[108:109]
	v_add_f64 v[106:107], v[106:107], v[114:115]
	v_fma_f64 v[114:115], v[80:81], s[6:7], -v[116:117]
	v_mul_f64 v[130:131], v[84:85], s[28:29]
	v_add_f64 v[98:99], v[98:99], v[134:135]
	v_add_f64 v[110:111], v[118:119], v[110:111]
	v_fma_f64 v[118:119], v[68:69], s[14:15], v[120:121]
	v_fma_f64 v[120:121], v[38:39], s[2:3], -v[122:123]
	v_fma_f64 v[122:123], v[66:67], s[2:3], v[112:113]
	v_add_f64 v[128:129], v[22:23], v[128:129]
	v_mul_f64 v[132:133], v[92:93], s[36:37]
	v_add_f64 v[114:115], v[20:21], v[114:115]
	v_fma_f64 v[134:135], v[72:73], s[2:3], -v[130:131]
	v_mul_f64 v[136:137], v[78:79], s[36:37]
	v_add_f64 v[106:107], v[118:119], v[106:107]
	v_fma_f64 v[118:119], v[30:31], s[8:9], -v[126:127]
	v_mul_f64 v[138:139], v[90:91], s[22:23]
	v_add_f64 v[122:123], v[122:123], v[128:129]
	v_fma_f64 v[126:127], v[40:41], s[8:9], v[132:133]
	v_mul_f64 v[104:105], v[76:77], s[36:37]
	v_add_f64 v[114:115], v[134:135], v[114:115]
	v_fma_f64 v[134:135], v[68:69], s[8:9], -v[136:137]
	v_fma_f64 v[124:125], v[60:61], s[2:3], v[124:125]
	v_mul_f64 v[128:129], v[70:71], s[22:23]
	v_add_f64 v[110:111], v[120:121], v[110:111]
	v_fma_f64 v[108:109], v[74:75], s[6:7], -v[108:109]
	v_add_f64 v[122:123], v[126:127], v[122:123]
	v_fma_f64 v[126:127], v[60:61], s[14:15], -v[138:139]
	v_fma_f64 v[102:103], v[52:53], s[8:9], -v[104:105]
	v_add_f64 v[114:115], v[134:135], v[114:115]
	v_fma_f64 v[120:121], v[52:53], s[8:9], v[104:105]
	v_add_f64 v[106:107], v[124:125], v[106:107]
	v_fma_f64 v[124:125], v[38:39], s[14:15], v[128:129]
	v_mul_f64 v[134:135], v[56:57], s[18:19]
	v_add_f64 v[104:105], v[118:119], v[110:111]
	v_fma_f64 v[110:111], v[66:67], s[2:3], -v[112:113]
	v_add_f64 v[108:109], v[22:23], v[108:109]
	v_add_f64 v[112:113], v[126:127], v[114:115]
	v_fma_f64 v[114:115], v[80:81], s[6:7], v[116:117]
	v_add_f64 v[98:99], v[102:103], v[98:99]
	v_add_f64 v[102:103], v[120:121], v[106:107]
	;; [unrolled: 1-line block ×3, first 2 shown]
	v_fma_f64 v[116:117], v[30:31], s[4:5], v[134:135]
	v_mul_f64 v[118:119], v[94:95], s[20:21]
	v_add_f64 v[110:111], v[110:111], v[108:109]
	v_fma_f64 v[122:123], v[40:41], s[8:9], -v[132:133]
	v_mul_f64 v[124:125], v[86:87], s[20:21]
	v_fma_f64 v[126:127], v[72:73], s[2:3], v[130:131]
	v_add_f64 v[114:115], v[20:21], v[114:115]
	v_mul_f64 v[132:133], v[84:85], s[18:19]
	v_add_f64 v[108:109], v[116:117], v[106:107]
	v_fma_f64 v[106:107], v[74:75], s[8:9], v[118:119]
	v_mul_f64 v[116:117], v[96:97], s[18:19]
	v_add_f64 v[110:111], v[122:123], v[110:111]
	v_fma_f64 v[122:123], v[80:81], s[8:9], -v[124:125]
	v_mul_f64 v[120:121], v[76:77], s[18:19]
	v_add_f64 v[114:115], v[126:127], v[114:115]
	v_fma_f64 v[126:127], v[68:69], s[8:9], v[136:137]
	v_mul_f64 v[140:141], v[92:93], s[28:29]
	v_add_f64 v[106:107], v[22:23], v[106:107]
	v_fma_f64 v[136:137], v[66:67], s[4:5], v[116:117]
	v_fma_f64 v[128:129], v[38:39], s[14:15], -v[128:129]
	v_add_f64 v[122:123], v[20:21], v[122:123]
	v_fma_f64 v[142:143], v[72:73], s[4:5], -v[132:133]
	v_mul_f64 v[144:145], v[78:79], s[28:29]
	v_add_f64 v[114:115], v[126:127], v[114:115]
	v_fma_f64 v[126:127], v[60:61], s[14:15], v[138:139]
	v_fma_f64 v[130:131], v[52:53], s[4:5], -v[120:121]
	v_add_f64 v[106:107], v[136:137], v[106:107]
	v_fma_f64 v[136:137], v[40:41], s[2:3], v[140:141]
	v_add_f64 v[110:111], v[128:129], v[110:111]
	v_add_f64 v[122:123], v[142:143], v[122:123]
	v_fma_f64 v[128:129], v[68:69], s[2:3], -v[144:145]
	v_mul_f64 v[142:143], v[90:91], s[30:31]
	v_add_f64 v[114:115], v[126:127], v[114:115]
	v_fma_f64 v[126:127], v[30:31], s[4:5], -v[134:135]
	v_fma_f64 v[120:121], v[52:53], s[4:5], v[120:121]
	v_mul_f64 v[138:139], v[70:71], s[30:31]
	v_add_f64 v[134:135], v[136:137], v[106:107]
	v_add_f64 v[106:107], v[130:131], v[112:113]
	;; [unrolled: 1-line block ×3, first 2 shown]
	v_fma_f64 v[128:129], v[60:61], s[6:7], -v[142:143]
	v_add_f64 v[88:89], v[22:23], v[88:89]
	v_add_f64 v[112:113], v[126:127], v[110:111]
	;; [unrolled: 1-line block ×3, first 2 shown]
	v_fma_f64 v[114:115], v[74:75], s[8:9], -v[118:119]
	v_fma_f64 v[120:121], v[80:81], s[8:9], v[124:125]
	v_add_f64 v[82:83], v[20:21], v[82:83]
	v_fma_f64 v[136:137], v[38:39], s[6:7], v[138:139]
	v_add_f64 v[118:119], v[128:129], v[122:123]
	v_fma_f64 v[116:117], v[66:67], s[4:5], -v[116:117]
	v_fma_f64 v[128:129], v[72:73], s[4:5], v[132:133]
	v_add_f64 v[64:65], v[64:65], v[88:89]
	v_add_f64 v[114:115], v[22:23], v[114:115]
	;; [unrolled: 1-line block ×4, first 2 shown]
	v_mul_f64 v[126:127], v[94:95], s[22:23]
	v_add_f64 v[94:95], v[136:137], v[134:135]
	v_mul_f64 v[134:135], v[92:93], s[16:17]
	v_mul_f64 v[86:87], v[86:87], s[22:23]
	v_add_f64 v[58:59], v[58:59], v[64:65]
	v_add_f64 v[92:93], v[116:117], v[114:115]
	;; [unrolled: 1-line block ×3, first 2 shown]
	v_fma_f64 v[120:121], v[68:69], s[2:3], v[144:145]
	v_add_f64 v[54:55], v[54:55], v[62:63]
	v_mul_f64 v[84:85], v[84:85], s[20:21]
	v_fma_f64 v[124:125], v[74:75], s[14:15], v[126:127]
	v_mul_f64 v[96:97], v[96:97], s[20:21]
	v_add_f64 v[50:51], v[50:51], v[58:59]
	v_fma_f64 v[74:75], v[74:75], s[14:15], -v[126:127]
	v_mul_f64 v[78:79], v[78:79], s[16:17]
	v_add_f64 v[88:89], v[120:121], v[116:117]
	v_fma_f64 v[116:117], v[60:61], s[6:7], v[142:143]
	v_add_f64 v[42:43], v[42:43], v[54:55]
	v_add_f64 v[124:125], v[22:23], v[124:125]
	v_fma_f64 v[132:133], v[66:67], s[8:9], v[96:97]
	v_add_f64 v[36:37], v[36:37], v[50:51]
	v_fma_f64 v[66:67], v[66:67], s[8:9], -v[96:97]
	v_add_f64 v[22:23], v[22:23], v[74:75]
	v_mul_f64 v[90:91], v[90:91], s[18:19]
	v_add_f64 v[64:65], v[116:117], v[88:89]
	v_fma_f64 v[88:89], v[80:81], s[14:15], -v[86:87]
	v_add_f64 v[34:35], v[34:35], v[42:43]
	v_fma_f64 v[80:81], v[80:81], s[14:15], v[86:87]
	v_fma_f64 v[42:43], v[72:73], s[8:9], -v[84:85]
	v_add_f64 v[32:33], v[32:33], v[36:37]
	v_fma_f64 v[72:73], v[72:73], s[8:9], v[84:85]
	v_fma_f64 v[114:115], v[40:41], s[2:3], -v[140:141]
	v_fma_f64 v[128:129], v[40:41], s[6:7], v[134:135]
	v_add_f64 v[50:51], v[20:21], v[88:89]
	v_add_f64 v[28:29], v[28:29], v[34:35]
	;; [unrolled: 1-line block ×3, first 2 shown]
	v_fma_f64 v[34:35], v[68:69], s[6:7], -v[78:79]
	v_mul_f64 v[70:71], v[70:71], s[18:19]
	v_fma_f64 v[40:41], v[40:41], s[6:7], -v[134:135]
	v_add_f64 v[22:23], v[66:67], v[22:23]
	v_add_f64 v[26:27], v[26:27], v[32:33]
	;; [unrolled: 1-line block ×4, first 2 shown]
	v_fma_f64 v[42:43], v[68:69], s[6:7], v[78:79]
	v_add_f64 v[20:21], v[72:73], v[20:21]
	v_mul_f64 v[122:123], v[76:77], s[26:27]
	v_mul_f64 v[76:77], v[76:77], s[24:25]
	v_fma_f64 v[28:29], v[60:61], s[4:5], -v[90:91]
	v_mul_f64 v[146:147], v[56:57], s[26:27]
	v_add_f64 v[32:33], v[34:35], v[36:37]
	v_fma_f64 v[34:35], v[38:39], s[4:5], -v[70:71]
	v_add_f64 v[22:23], v[40:41], v[22:23]
	v_add_f64 v[18:19], v[18:19], v[26:27]
	;; [unrolled: 1-line block ×4, first 2 shown]
	v_mul_f64 v[56:57], v[56:57], s[24:25]
	v_fma_f64 v[36:37], v[60:61], s[4:5], v[90:91]
	v_add_f64 v[20:21], v[42:43], v[20:21]
	v_add_f64 v[114:115], v[114:115], v[92:93]
	v_fma_f64 v[132:133], v[38:39], s[6:7], -v[138:139]
	v_fma_f64 v[24:25], v[52:53], s[2:3], -v[76:77]
	v_add_f64 v[26:27], v[28:29], v[32:33]
	v_fma_f64 v[130:131], v[30:31], s[14:15], v[146:147]
	v_add_f64 v[22:23], v[34:35], v[22:23]
	v_add_f64 v[32:33], v[14:15], v[18:19]
	;; [unrolled: 1-line block ×3, first 2 shown]
	v_mul_lo_u32 v136, s35, v46
	v_mul_lo_u32 v137, s34, v47
	v_add_f64 v[82:83], v[128:129], v[124:125]
	v_fma_f64 v[120:121], v[38:39], s[4:5], v[70:71]
	v_mad_u64_u32 v[46:47], s[12:13], s34, v46, 0
	v_fma_f64 v[54:55], v[30:31], s[14:15], -v[146:147]
	v_fma_f64 v[86:87], v[30:31], s[2:3], v[56:57]
	v_fma_f64 v[28:29], v[30:31], s[2:3], -v[56:57]
	v_fma_f64 v[30:31], v[52:53], s[2:3], v[76:77]
	v_add_f64 v[20:21], v[36:37], v[20:21]
	v_add_f64 v[62:63], v[132:133], v[114:115]
	v_fma_f64 v[58:59], v[52:53], s[14:15], v[122:123]
	v_add3_u32 v47, v47, v137, v136
	v_add_f64 v[16:17], v[24:25], v[26:27]
	v_lshlrev_b64 v[24:25], 4, v[46:47]
	v_add_f64 v[94:95], v[130:131], v[94:95]
	v_fma_f64 v[130:131], v[52:53], s[14:15], -v[122:123]
	v_add_f64 v[10:11], v[10:11], v[32:33]
	v_add_f64 v[8:9], v[8:9], v[34:35]
	v_mov_b32_e32 v26, s11
	v_add_co_u32_e32 v27, vcc, s10, v24
	v_add_f64 v[82:83], v[120:121], v[82:83]
	v_add_f64 v[22:23], v[28:29], v[22:23]
	;; [unrolled: 1-line block ×3, first 2 shown]
	v_addc_co_u32_e32 v26, vcc, v26, v25, vcc
	v_lshlrev_b64 v[24:25], 4, v[44:45]
	v_add_f64 v[14:15], v[54:55], v[62:63]
	v_add_f64 v[12:13], v[58:59], v[64:65]
	v_add_co_u32_e32 v27, vcc, v27, v24
	v_addc_co_u32_e32 v26, vcc, v26, v25, vcc
	v_lshlrev_b64 v[24:25], 4, v[48:49]
	v_add_f64 v[92:93], v[130:131], v[118:119]
	v_add_co_u32_e32 v24, vcc, v27, v24
	v_addc_co_u32_e32 v25, vcc, v26, v25, vcc
	global_store_dwordx4 v[24:25], v[8:11], off
	global_store_dwordx4 v[24:25], v[20:23], off offset:1936
	global_store_dwordx4 v[24:25], v[12:15], off offset:3872
	v_add_co_u32_e32 v8, vcc, s1, v24
	v_add_f64 v[18:19], v[86:87], v[82:83]
	v_addc_co_u32_e32 v9, vcc, 0, v25, vcc
	global_store_dwordx4 v[8:9], v[110:113], off offset:1712
	global_store_dwordx4 v[8:9], v[102:105], off offset:3648
	v_add_co_u32_e32 v8, vcc, s0, v24
	v_addc_co_u32_e32 v9, vcc, 0, v25, vcc
	s_movk_i32 s0, 0x3000
	global_store_dwordx4 v[8:9], v[4:7], off offset:1488
	global_store_dwordx4 v[8:9], v[0:3], off offset:3424
	s_nop 0
	v_add_co_u32_e32 v0, vcc, s0, v24
	v_addc_co_u32_e32 v1, vcc, 0, v25, vcc
	global_store_dwordx4 v[0:1], v[98:101], off offset:1264
	global_store_dwordx4 v[0:1], v[106:109], off offset:3200
	v_add_co_u32_e32 v0, vcc, 0x4000, v24
	v_addc_co_u32_e32 v1, vcc, 0, v25, vcc
	global_store_dwordx4 v[0:1], v[92:95], off offset:1040
	global_store_dwordx4 v[0:1], v[16:19], off offset:2976
.LBB0_15:
	s_endpgm
	.section	.rodata,"a",@progbits
	.p2align	6, 0x0
	.amdhsa_kernel fft_rtc_back_len1331_factors_11_11_11_wgs_242_tpt_121_halfLds_dp_op_CI_CI_unitstride_sbrr_dirReg
		.amdhsa_group_segment_fixed_size 0
		.amdhsa_private_segment_fixed_size 0
		.amdhsa_kernarg_size 104
		.amdhsa_user_sgpr_count 6
		.amdhsa_user_sgpr_private_segment_buffer 1
		.amdhsa_user_sgpr_dispatch_ptr 0
		.amdhsa_user_sgpr_queue_ptr 0
		.amdhsa_user_sgpr_kernarg_segment_ptr 1
		.amdhsa_user_sgpr_dispatch_id 0
		.amdhsa_user_sgpr_flat_scratch_init 0
		.amdhsa_user_sgpr_private_segment_size 0
		.amdhsa_uses_dynamic_stack 0
		.amdhsa_system_sgpr_private_segment_wavefront_offset 0
		.amdhsa_system_sgpr_workgroup_id_x 1
		.amdhsa_system_sgpr_workgroup_id_y 0
		.amdhsa_system_sgpr_workgroup_id_z 0
		.amdhsa_system_sgpr_workgroup_info 0
		.amdhsa_system_vgpr_workitem_id 0
		.amdhsa_next_free_vgpr 158
		.amdhsa_next_free_sgpr 40
		.amdhsa_reserve_vcc 1
		.amdhsa_reserve_flat_scratch 0
		.amdhsa_float_round_mode_32 0
		.amdhsa_float_round_mode_16_64 0
		.amdhsa_float_denorm_mode_32 3
		.amdhsa_float_denorm_mode_16_64 3
		.amdhsa_dx10_clamp 1
		.amdhsa_ieee_mode 1
		.amdhsa_fp16_overflow 0
		.amdhsa_exception_fp_ieee_invalid_op 0
		.amdhsa_exception_fp_denorm_src 0
		.amdhsa_exception_fp_ieee_div_zero 0
		.amdhsa_exception_fp_ieee_overflow 0
		.amdhsa_exception_fp_ieee_underflow 0
		.amdhsa_exception_fp_ieee_inexact 0
		.amdhsa_exception_int_div_zero 0
	.end_amdhsa_kernel
	.text
.Lfunc_end0:
	.size	fft_rtc_back_len1331_factors_11_11_11_wgs_242_tpt_121_halfLds_dp_op_CI_CI_unitstride_sbrr_dirReg, .Lfunc_end0-fft_rtc_back_len1331_factors_11_11_11_wgs_242_tpt_121_halfLds_dp_op_CI_CI_unitstride_sbrr_dirReg
                                        ; -- End function
	.section	.AMDGPU.csdata,"",@progbits
; Kernel info:
; codeLenInByte = 10484
; NumSgprs: 44
; NumVgprs: 158
; ScratchSize: 0
; MemoryBound: 1
; FloatMode: 240
; IeeeMode: 1
; LDSByteSize: 0 bytes/workgroup (compile time only)
; SGPRBlocks: 5
; VGPRBlocks: 39
; NumSGPRsForWavesPerEU: 44
; NumVGPRsForWavesPerEU: 158
; Occupancy: 1
; WaveLimiterHint : 1
; COMPUTE_PGM_RSRC2:SCRATCH_EN: 0
; COMPUTE_PGM_RSRC2:USER_SGPR: 6
; COMPUTE_PGM_RSRC2:TRAP_HANDLER: 0
; COMPUTE_PGM_RSRC2:TGID_X_EN: 1
; COMPUTE_PGM_RSRC2:TGID_Y_EN: 0
; COMPUTE_PGM_RSRC2:TGID_Z_EN: 0
; COMPUTE_PGM_RSRC2:TIDIG_COMP_CNT: 0
	.type	__hip_cuid_95b40a8edaa5aca6,@object ; @__hip_cuid_95b40a8edaa5aca6
	.section	.bss,"aw",@nobits
	.globl	__hip_cuid_95b40a8edaa5aca6
__hip_cuid_95b40a8edaa5aca6:
	.byte	0                               ; 0x0
	.size	__hip_cuid_95b40a8edaa5aca6, 1

	.ident	"AMD clang version 19.0.0git (https://github.com/RadeonOpenCompute/llvm-project roc-6.4.0 25133 c7fe45cf4b819c5991fe208aaa96edf142730f1d)"
	.section	".note.GNU-stack","",@progbits
	.addrsig
	.addrsig_sym __hip_cuid_95b40a8edaa5aca6
	.amdgpu_metadata
---
amdhsa.kernels:
  - .args:
      - .actual_access:  read_only
        .address_space:  global
        .offset:         0
        .size:           8
        .value_kind:     global_buffer
      - .offset:         8
        .size:           8
        .value_kind:     by_value
      - .actual_access:  read_only
        .address_space:  global
        .offset:         16
        .size:           8
        .value_kind:     global_buffer
      - .actual_access:  read_only
        .address_space:  global
        .offset:         24
        .size:           8
        .value_kind:     global_buffer
      - .actual_access:  read_only
        .address_space:  global
        .offset:         32
        .size:           8
        .value_kind:     global_buffer
      - .offset:         40
        .size:           8
        .value_kind:     by_value
      - .actual_access:  read_only
        .address_space:  global
        .offset:         48
        .size:           8
        .value_kind:     global_buffer
      - .actual_access:  read_only
        .address_space:  global
        .offset:         56
        .size:           8
        .value_kind:     global_buffer
      - .offset:         64
        .size:           4
        .value_kind:     by_value
      - .actual_access:  read_only
        .address_space:  global
        .offset:         72
        .size:           8
        .value_kind:     global_buffer
      - .actual_access:  read_only
        .address_space:  global
        .offset:         80
        .size:           8
        .value_kind:     global_buffer
      - .actual_access:  read_only
        .address_space:  global
        .offset:         88
        .size:           8
        .value_kind:     global_buffer
      - .actual_access:  write_only
        .address_space:  global
        .offset:         96
        .size:           8
        .value_kind:     global_buffer
    .group_segment_fixed_size: 0
    .kernarg_segment_align: 8
    .kernarg_segment_size: 104
    .language:       OpenCL C
    .language_version:
      - 2
      - 0
    .max_flat_workgroup_size: 242
    .name:           fft_rtc_back_len1331_factors_11_11_11_wgs_242_tpt_121_halfLds_dp_op_CI_CI_unitstride_sbrr_dirReg
    .private_segment_fixed_size: 0
    .sgpr_count:     44
    .sgpr_spill_count: 0
    .symbol:         fft_rtc_back_len1331_factors_11_11_11_wgs_242_tpt_121_halfLds_dp_op_CI_CI_unitstride_sbrr_dirReg.kd
    .uniform_work_group_size: 1
    .uses_dynamic_stack: false
    .vgpr_count:     158
    .vgpr_spill_count: 0
    .wavefront_size: 64
amdhsa.target:   amdgcn-amd-amdhsa--gfx906
amdhsa.version:
  - 1
  - 2
...

	.end_amdgpu_metadata
